;; amdgpu-corpus repo=ROCm/rocFFT kind=compiled arch=gfx1030 opt=O3
	.text
	.amdgcn_target "amdgcn-amd-amdhsa--gfx1030"
	.amdhsa_code_object_version 6
	.protected	fft_rtc_fwd_len364_factors_13_7_4_wgs_52_tpt_52_dp_op_CI_CI_unitstride_sbrr_R2C_dirReg ; -- Begin function fft_rtc_fwd_len364_factors_13_7_4_wgs_52_tpt_52_dp_op_CI_CI_unitstride_sbrr_R2C_dirReg
	.globl	fft_rtc_fwd_len364_factors_13_7_4_wgs_52_tpt_52_dp_op_CI_CI_unitstride_sbrr_R2C_dirReg
	.p2align	8
	.type	fft_rtc_fwd_len364_factors_13_7_4_wgs_52_tpt_52_dp_op_CI_CI_unitstride_sbrr_R2C_dirReg,@function
fft_rtc_fwd_len364_factors_13_7_4_wgs_52_tpt_52_dp_op_CI_CI_unitstride_sbrr_R2C_dirReg: ; @fft_rtc_fwd_len364_factors_13_7_4_wgs_52_tpt_52_dp_op_CI_CI_unitstride_sbrr_R2C_dirReg
; %bb.0:
	s_clause 0x2
	s_load_dwordx4 s[12:15], s[4:5], 0x0
	s_load_dwordx4 s[8:11], s[4:5], 0x58
	;; [unrolled: 1-line block ×3, first 2 shown]
	v_mul_u32_u24_e32 v1, 0x4ed, v0
	v_mov_b32_e32 v3, 0
	v_add_nc_u32_sdwa v5, s6, v1 dst_sel:DWORD dst_unused:UNUSED_PAD src0_sel:DWORD src1_sel:WORD_1
	v_mov_b32_e32 v1, 0
	v_mov_b32_e32 v6, v3
	v_mov_b32_e32 v2, 0
	s_waitcnt lgkmcnt(0)
	v_cmp_lt_u64_e64 s0, s[14:15], 2
	s_and_b32 vcc_lo, exec_lo, s0
	s_cbranch_vccnz .LBB0_8
; %bb.1:
	s_load_dwordx2 s[0:1], s[4:5], 0x10
	v_mov_b32_e32 v1, 0
	v_mov_b32_e32 v2, 0
	s_add_u32 s2, s18, 8
	s_addc_u32 s3, s19, 0
	s_add_u32 s6, s16, 8
	s_addc_u32 s7, s17, 0
	v_mov_b32_e32 v57, v2
	v_mov_b32_e32 v56, v1
	s_mov_b64 s[22:23], 1
	s_waitcnt lgkmcnt(0)
	s_add_u32 s20, s0, 8
	s_addc_u32 s21, s1, 0
.LBB0_2:                                ; =>This Inner Loop Header: Depth=1
	s_load_dwordx2 s[24:25], s[20:21], 0x0
                                        ; implicit-def: $vgpr58_vgpr59
	s_mov_b32 s0, exec_lo
	s_waitcnt lgkmcnt(0)
	v_or_b32_e32 v4, s25, v6
	v_cmpx_ne_u64_e32 0, v[3:4]
	s_xor_b32 s1, exec_lo, s0
	s_cbranch_execz .LBB0_4
; %bb.3:                                ;   in Loop: Header=BB0_2 Depth=1
	v_cvt_f32_u32_e32 v4, s24
	v_cvt_f32_u32_e32 v7, s25
	s_sub_u32 s0, 0, s24
	s_subb_u32 s26, 0, s25
	v_fmac_f32_e32 v4, 0x4f800000, v7
	v_rcp_f32_e32 v4, v4
	v_mul_f32_e32 v4, 0x5f7ffffc, v4
	v_mul_f32_e32 v7, 0x2f800000, v4
	v_trunc_f32_e32 v7, v7
	v_fmac_f32_e32 v4, 0xcf800000, v7
	v_cvt_u32_f32_e32 v7, v7
	v_cvt_u32_f32_e32 v4, v4
	v_mul_lo_u32 v8, s0, v7
	v_mul_hi_u32 v9, s0, v4
	v_mul_lo_u32 v10, s26, v4
	v_add_nc_u32_e32 v8, v9, v8
	v_mul_lo_u32 v9, s0, v4
	v_add_nc_u32_e32 v8, v8, v10
	v_mul_hi_u32 v10, v4, v9
	v_mul_lo_u32 v11, v4, v8
	v_mul_hi_u32 v12, v4, v8
	v_mul_hi_u32 v13, v7, v9
	v_mul_lo_u32 v9, v7, v9
	v_mul_hi_u32 v14, v7, v8
	v_mul_lo_u32 v8, v7, v8
	v_add_co_u32 v10, vcc_lo, v10, v11
	v_add_co_ci_u32_e32 v11, vcc_lo, 0, v12, vcc_lo
	v_add_co_u32 v9, vcc_lo, v10, v9
	v_add_co_ci_u32_e32 v9, vcc_lo, v11, v13, vcc_lo
	v_add_co_ci_u32_e32 v10, vcc_lo, 0, v14, vcc_lo
	v_add_co_u32 v8, vcc_lo, v9, v8
	v_add_co_ci_u32_e32 v9, vcc_lo, 0, v10, vcc_lo
	v_add_co_u32 v4, vcc_lo, v4, v8
	v_add_co_ci_u32_e32 v7, vcc_lo, v7, v9, vcc_lo
	v_mul_hi_u32 v8, s0, v4
	v_mul_lo_u32 v10, s26, v4
	v_mul_lo_u32 v9, s0, v7
	v_add_nc_u32_e32 v8, v8, v9
	v_mul_lo_u32 v9, s0, v4
	v_add_nc_u32_e32 v8, v8, v10
	v_mul_hi_u32 v10, v4, v9
	v_mul_lo_u32 v11, v4, v8
	v_mul_hi_u32 v12, v4, v8
	v_mul_hi_u32 v13, v7, v9
	v_mul_lo_u32 v9, v7, v9
	v_mul_hi_u32 v14, v7, v8
	v_mul_lo_u32 v8, v7, v8
	v_add_co_u32 v10, vcc_lo, v10, v11
	v_add_co_ci_u32_e32 v11, vcc_lo, 0, v12, vcc_lo
	v_add_co_u32 v9, vcc_lo, v10, v9
	v_add_co_ci_u32_e32 v9, vcc_lo, v11, v13, vcc_lo
	v_add_co_ci_u32_e32 v10, vcc_lo, 0, v14, vcc_lo
	v_add_co_u32 v8, vcc_lo, v9, v8
	v_add_co_ci_u32_e32 v9, vcc_lo, 0, v10, vcc_lo
	v_add_co_u32 v4, vcc_lo, v4, v8
	v_add_co_ci_u32_e32 v11, vcc_lo, v7, v9, vcc_lo
	v_mul_hi_u32 v13, v5, v4
	v_mad_u64_u32 v[9:10], null, v6, v4, 0
	v_mad_u64_u32 v[7:8], null, v5, v11, 0
	;; [unrolled: 1-line block ×3, first 2 shown]
	v_add_co_u32 v4, vcc_lo, v13, v7
	v_add_co_ci_u32_e32 v7, vcc_lo, 0, v8, vcc_lo
	v_add_co_u32 v4, vcc_lo, v4, v9
	v_add_co_ci_u32_e32 v4, vcc_lo, v7, v10, vcc_lo
	v_add_co_ci_u32_e32 v7, vcc_lo, 0, v12, vcc_lo
	v_add_co_u32 v4, vcc_lo, v4, v11
	v_add_co_ci_u32_e32 v9, vcc_lo, 0, v7, vcc_lo
	v_mul_lo_u32 v10, s25, v4
	v_mad_u64_u32 v[7:8], null, s24, v4, 0
	v_mul_lo_u32 v11, s24, v9
	v_sub_co_u32 v7, vcc_lo, v5, v7
	v_add3_u32 v8, v8, v11, v10
	v_sub_nc_u32_e32 v10, v6, v8
	v_subrev_co_ci_u32_e64 v10, s0, s25, v10, vcc_lo
	v_add_co_u32 v11, s0, v4, 2
	v_add_co_ci_u32_e64 v12, s0, 0, v9, s0
	v_sub_co_u32 v13, s0, v7, s24
	v_sub_co_ci_u32_e32 v8, vcc_lo, v6, v8, vcc_lo
	v_subrev_co_ci_u32_e64 v10, s0, 0, v10, s0
	v_cmp_le_u32_e32 vcc_lo, s24, v13
	v_cmp_eq_u32_e64 s0, s25, v8
	v_cndmask_b32_e64 v13, 0, -1, vcc_lo
	v_cmp_le_u32_e32 vcc_lo, s25, v10
	v_cndmask_b32_e64 v14, 0, -1, vcc_lo
	v_cmp_le_u32_e32 vcc_lo, s24, v7
	;; [unrolled: 2-line block ×3, first 2 shown]
	v_cndmask_b32_e64 v15, 0, -1, vcc_lo
	v_cmp_eq_u32_e32 vcc_lo, s25, v10
	v_cndmask_b32_e64 v7, v15, v7, s0
	v_cndmask_b32_e32 v10, v14, v13, vcc_lo
	v_add_co_u32 v13, vcc_lo, v4, 1
	v_add_co_ci_u32_e32 v14, vcc_lo, 0, v9, vcc_lo
	v_cmp_ne_u32_e32 vcc_lo, 0, v10
	v_cndmask_b32_e32 v8, v14, v12, vcc_lo
	v_cndmask_b32_e32 v10, v13, v11, vcc_lo
	v_cmp_ne_u32_e32 vcc_lo, 0, v7
	v_cndmask_b32_e32 v59, v9, v8, vcc_lo
	v_cndmask_b32_e32 v58, v4, v10, vcc_lo
.LBB0_4:                                ;   in Loop: Header=BB0_2 Depth=1
	s_andn2_saveexec_b32 s0, s1
	s_cbranch_execz .LBB0_6
; %bb.5:                                ;   in Loop: Header=BB0_2 Depth=1
	v_cvt_f32_u32_e32 v4, s24
	s_sub_i32 s1, 0, s24
	v_mov_b32_e32 v59, v3
	v_rcp_iflag_f32_e32 v4, v4
	v_mul_f32_e32 v4, 0x4f7ffffe, v4
	v_cvt_u32_f32_e32 v4, v4
	v_mul_lo_u32 v7, s1, v4
	v_mul_hi_u32 v7, v4, v7
	v_add_nc_u32_e32 v4, v4, v7
	v_mul_hi_u32 v4, v5, v4
	v_mul_lo_u32 v7, v4, s24
	v_add_nc_u32_e32 v8, 1, v4
	v_sub_nc_u32_e32 v7, v5, v7
	v_subrev_nc_u32_e32 v9, s24, v7
	v_cmp_le_u32_e32 vcc_lo, s24, v7
	v_cndmask_b32_e32 v7, v7, v9, vcc_lo
	v_cndmask_b32_e32 v4, v4, v8, vcc_lo
	v_cmp_le_u32_e32 vcc_lo, s24, v7
	v_add_nc_u32_e32 v8, 1, v4
	v_cndmask_b32_e32 v58, v4, v8, vcc_lo
.LBB0_6:                                ;   in Loop: Header=BB0_2 Depth=1
	s_or_b32 exec_lo, exec_lo, s0
	v_mul_lo_u32 v4, v59, s24
	v_mul_lo_u32 v9, v58, s25
	s_load_dwordx2 s[0:1], s[6:7], 0x0
	v_mad_u64_u32 v[7:8], null, v58, s24, 0
	s_load_dwordx2 s[24:25], s[2:3], 0x0
	s_add_u32 s22, s22, 1
	s_addc_u32 s23, s23, 0
	s_add_u32 s2, s2, 8
	s_addc_u32 s3, s3, 0
	s_add_u32 s6, s6, 8
	v_add3_u32 v4, v8, v9, v4
	v_sub_co_u32 v5, vcc_lo, v5, v7
	s_addc_u32 s7, s7, 0
	s_add_u32 s20, s20, 8
	v_sub_co_ci_u32_e32 v4, vcc_lo, v6, v4, vcc_lo
	s_addc_u32 s21, s21, 0
	s_waitcnt lgkmcnt(0)
	v_mul_lo_u32 v6, s0, v4
	v_mul_lo_u32 v7, s1, v5
	v_mad_u64_u32 v[1:2], null, s0, v5, v[1:2]
	v_mul_lo_u32 v4, s24, v4
	v_mul_lo_u32 v8, s25, v5
	v_mad_u64_u32 v[56:57], null, s24, v5, v[56:57]
	v_cmp_ge_u64_e64 s0, s[22:23], s[14:15]
	v_add3_u32 v2, v7, v2, v6
	v_add3_u32 v57, v8, v57, v4
	s_and_b32 vcc_lo, exec_lo, s0
	s_cbranch_vccnz .LBB0_9
; %bb.7:                                ;   in Loop: Header=BB0_2 Depth=1
	v_mov_b32_e32 v5, v58
	v_mov_b32_e32 v6, v59
	s_branch .LBB0_2
.LBB0_8:
	v_mov_b32_e32 v57, v2
	v_mov_b32_e32 v59, v6
	;; [unrolled: 1-line block ×4, first 2 shown]
.LBB0_9:
	s_load_dwordx2 s[0:1], s[4:5], 0x28
	v_mul_hi_u32 v3, 0x4ec4ec5, v0
	s_lshl_b64 s[4:5], s[14:15], 3
                                        ; implicit-def: $vgpr60
	s_add_u32 s2, s18, s4
	s_addc_u32 s3, s19, s5
	s_waitcnt lgkmcnt(0)
	v_cmp_gt_u64_e32 vcc_lo, s[0:1], v[58:59]
	v_cmp_le_u64_e64 s0, s[0:1], v[58:59]
	s_and_saveexec_b32 s1, s0
	s_xor_b32 s0, exec_lo, s1
; %bb.10:
	v_mul_u32_u24_e32 v1, 52, v3
                                        ; implicit-def: $vgpr3
	v_sub_nc_u32_e32 v60, v0, v1
                                        ; implicit-def: $vgpr0
                                        ; implicit-def: $vgpr1_vgpr2
; %bb.11:
	s_andn2_saveexec_b32 s1, s0
	s_cbranch_execz .LBB0_13
; %bb.12:
	s_add_u32 s4, s16, s4
	s_addc_u32 s5, s17, s5
	v_lshlrev_b64 v[1:2], 4, v[1:2]
	s_load_dwordx2 s[4:5], s[4:5], 0x0
	s_waitcnt lgkmcnt(0)
	v_mul_lo_u32 v6, s5, v58
	v_mul_lo_u32 v7, s4, v59
	v_mad_u64_u32 v[4:5], null, s4, v58, 0
	v_add3_u32 v5, v5, v7, v6
	v_mul_u32_u24_e32 v6, 52, v3
	v_lshlrev_b64 v[3:4], 4, v[4:5]
	v_sub_nc_u32_e32 v60, v0, v6
	v_lshlrev_b32_e32 v28, 4, v60
	v_add_co_u32 v0, s0, s8, v3
	v_add_co_ci_u32_e64 v3, s0, s9, v4, s0
	v_add_co_u32 v0, s0, v0, v1
	v_add_co_ci_u32_e64 v1, s0, v3, v2, s0
	;; [unrolled: 2-line block ×3, first 2 shown]
	v_add_nc_u32_e32 v28, 0, v28
	v_add_co_u32 v16, s0, 0x800, v8
	v_add_co_ci_u32_e64 v17, s0, 0, v9, s0
	v_add_co_u32 v24, s0, 0x1000, v8
	v_add_co_ci_u32_e64 v25, s0, 0, v9, s0
	s_clause 0x6
	global_load_dwordx4 v[0:3], v[8:9], off
	global_load_dwordx4 v[4:7], v[8:9], off offset:832
	global_load_dwordx4 v[8:11], v[8:9], off offset:1664
	;; [unrolled: 1-line block ×6, first 2 shown]
	s_waitcnt vmcnt(6)
	ds_write_b128 v28, v[0:3]
	s_waitcnt vmcnt(5)
	ds_write_b128 v28, v[4:7] offset:832
	s_waitcnt vmcnt(4)
	ds_write_b128 v28, v[8:11] offset:1664
	;; [unrolled: 2-line block ×6, first 2 shown]
.LBB0_13:
	s_or_b32 exec_lo, exec_lo, s1
	v_lshl_add_u32 v133, v60, 4, 0
	s_waitcnt lgkmcnt(0)
	s_barrier
	buffer_gl0_inv
	s_mov_b32 s6, 0x4bc48dbf
	ds_read_b128 v[4:7], v133 offset:5376
	ds_read_b128 v[32:35], v133 offset:448
	;; [unrolled: 1-line block ×3, first 2 shown]
	ds_read_b128 v[16:19], v133
	ds_read_b128 v[48:51], v133 offset:896
	s_mov_b32 s7, 0xbfcea1e5
	ds_read_b128 v[40:43], v133 offset:1344
	ds_read_b128 v[12:15], v133 offset:4480
	s_mov_b32 s4, 0x93053d00
	s_mov_b32 s8, 0x4267c47c
	s_mov_b32 s5, 0xbfef11f4
	s_mov_b32 s9, 0x3fddbe06
	ds_read_b128 v[20:23], v133 offset:4032
	ds_read_b128 v[52:55], v133 offset:1792
	s_mov_b32 s14, 0xe00740e9
	s_mov_b32 s16, 0x24c2f84
	s_mov_b32 s15, 0x3fec55a7
	;; [unrolled: 6-line block ×3, first 2 shown]
	s_waitcnt lgkmcnt(9)
	v_add_f64 v[79:80], v[34:35], -v[6:7]
	v_add_f64 v[69:70], v[32:33], -v[4:5]
	v_add_f64 v[71:72], v[32:33], v[4:5]
	v_add_f64 v[83:84], v[34:35], v[6:7]
	s_waitcnt lgkmcnt(6)
	v_add_f64 v[63:64], v[50:51], -v[10:11]
	v_add_f64 v[61:62], v[48:49], -v[8:9]
	v_add_f64 v[67:68], v[48:49], v[8:9]
	v_add_f64 v[85:86], v[50:51], v[10:11]
	;; [unrolled: 5-line block ×3, first 2 shown]
	s_waitcnt lgkmcnt(2)
	v_add_f64 v[81:82], v[54:55], -v[22:23]
	v_add_f64 v[73:74], v[52:53], -v[20:21]
	s_mov_b32 s21, 0x3fea55e2
	v_add_f64 v[97:98], v[52:53], v[20:21]
	v_add_f64 v[107:108], v[54:55], v[22:23]
	s_waitcnt lgkmcnt(0)
	v_add_f64 v[101:102], v[30:31], -v[26:27]
	v_add_f64 v[87:88], v[28:29], -v[24:25]
	ds_read_b128 v[44:47], v133 offset:2688
	ds_read_b128 v[36:39], v133 offset:3136
	s_mov_b32 s22, 0x1ea71119
	s_mov_b32 s26, 0x2ef20147
	v_mul_f64 v[121:122], v[79:80], s[6:7]
	v_mul_f64 v[123:124], v[69:70], s[6:7]
	s_mov_b32 s23, 0x3fe22d96
	s_mov_b32 s27, 0xbfedeba7
	v_mul_f64 v[125:126], v[63:64], s[8:9]
	v_mul_f64 v[127:128], v[61:62], s[8:9]
	v_add_f64 v[103:104], v[30:31], v[26:27]
	s_mov_b32 s30, 0xb2365da1
	v_mul_f64 v[129:130], v[75:76], s[16:17]
	v_mul_f64 v[131:132], v[65:66], s[16:17]
	s_mov_b32 s28, 0x66966769
	s_mov_b32 s31, 0xbfd6b1d8
	v_mul_f64 v[109:110], v[81:82], s[20:21]
	v_mul_f64 v[111:112], v[73:74], s[20:21]
	s_mov_b32 s29, 0x3fefc445
	s_mov_b32 s24, 0xebaa3ed8
	s_mov_b32 s25, 0x3fbedb7d
	s_waitcnt lgkmcnt(0)
	v_add_f64 v[99:100], v[46:47], -v[38:39]
	v_mul_f64 v[117:118], v[101:102], s[26:27]
	v_mul_f64 v[119:120], v[87:88], s[26:27]
	s_mov_b32 s33, exec_lo
	v_fma_f64 v[0:1], v[71:72], s[4:5], v[121:122]
	v_fma_f64 v[2:3], v[83:84], s[4:5], -v[123:124]
	s_barrier
	buffer_gl0_inv
	v_fma_f64 v[89:90], v[67:68], s[14:15], v[125:126]
	v_fma_f64 v[91:92], v[85:86], s[14:15], -v[127:128]
	v_fma_f64 v[93:94], v[77:78], s[18:19], v[129:130]
	v_fma_f64 v[105:106], v[95:96], s[18:19], -v[131:132]
	;; [unrolled: 2-line block ×3, first 2 shown]
	v_mul_f64 v[113:114], v[99:100], s[28:29]
	v_fma_f64 v[140:141], v[103:104], s[30:31], -v[119:120]
	v_add_f64 v[0:1], v[16:17], v[0:1]
	v_add_f64 v[2:3], v[18:19], v[2:3]
	;; [unrolled: 1-line block ×5, first 2 shown]
	v_add_f64 v[89:90], v[44:45], -v[36:37]
	v_add_f64 v[0:1], v[93:94], v[0:1]
	v_add_f64 v[2:3], v[105:106], v[2:3]
	;; [unrolled: 1-line block ×4, first 2 shown]
	v_mul_f64 v[115:116], v[89:90], s[28:29]
	v_fma_f64 v[138:139], v[91:92], s[30:31], v[117:118]
	v_add_f64 v[0:1], v[134:135], v[0:1]
	v_add_f64 v[2:3], v[136:137], v[2:3]
	v_fma_f64 v[134:135], v[93:94], s[24:25], v[113:114]
	v_fma_f64 v[136:137], v[105:106], s[24:25], -v[115:116]
	v_add_f64 v[0:1], v[138:139], v[0:1]
	v_add_f64 v[2:3], v[140:141], v[2:3]
	;; [unrolled: 1-line block ×4, first 2 shown]
	v_cmpx_gt_u32_e32 28, v60
	s_cbranch_execz .LBB0_15
; %bb.14:
	v_mul_f64 v[134:135], v[83:84], s[4:5]
	v_mul_f64 v[136:137], v[71:72], s[4:5]
	;; [unrolled: 1-line block ×4, first 2 shown]
	v_add_f64 v[32:33], v[16:17], v[32:33]
	v_add_f64 v[34:35], v[18:19], v[34:35]
	s_mov_b32 s1, 0x3fe5384d
	s_mov_b32 s0, s16
	;; [unrolled: 1-line block ×12, first 2 shown]
	v_add_f64 v[123:124], v[123:124], v[134:135]
	v_add_f64 v[121:122], v[136:137], -v[121:122]
	v_mul_f64 v[134:135], v[77:78], s[18:19]
	v_mul_f64 v[136:137], v[95:96], s[18:19]
	v_add_f64 v[127:128], v[127:128], v[138:139]
	v_add_f64 v[125:126], v[140:141], -v[125:126]
	v_mul_f64 v[138:139], v[97:98], s[22:23]
	v_mul_f64 v[140:141], v[107:108], s[22:23]
	v_add_f64 v[32:33], v[32:33], v[48:49]
	v_add_f64 v[34:35], v[34:35], v[50:51]
	v_mul_f64 v[48:49], v[93:94], s[24:25]
	v_mul_f64 v[50:51], v[105:106], s[24:25]
	v_add_f64 v[123:124], v[18:19], v[123:124]
	v_add_f64 v[121:122], v[16:17], v[121:122]
	v_add_f64 v[129:130], v[134:135], -v[129:130]
	v_add_f64 v[131:132], v[131:132], v[136:137]
	v_mul_f64 v[136:137], v[83:84], s[24:25]
	v_add_f64 v[109:110], v[138:139], -v[109:110]
	v_add_f64 v[111:112], v[111:112], v[140:141]
	v_add_f64 v[32:33], v[32:33], v[40:41]
	v_mul_f64 v[40:41], v[79:80], s[26:27]
	v_add_f64 v[34:35], v[34:35], v[42:43]
	v_add_f64 v[50:51], v[115:116], v[50:51]
	v_add_f64 v[48:49], v[48:49], -v[113:114]
	v_mul_f64 v[115:116], v[85:86], s[18:19]
	v_mul_f64 v[42:43], v[95:96], s[22:23]
	v_add_f64 v[123:124], v[127:128], v[123:124]
	v_add_f64 v[121:122], v[125:126], v[121:122]
	v_mul_f64 v[125:126], v[91:92], s[30:31]
	v_mul_f64 v[127:128], v[103:104], s[30:31]
	v_fma_f64 v[144:145], v[69:70], s[28:29], v[136:137]
	v_fma_f64 v[136:137], v[69:70], s[36:37], v[136:137]
	v_add_f64 v[52:53], v[32:33], v[52:53]
	v_fma_f64 v[142:143], v[71:72], s[30:31], v[40:41]
	v_add_f64 v[54:55], v[34:35], v[54:55]
	v_fma_f64 v[40:41], v[71:72], s[30:31], -v[40:41]
	v_add_f64 v[123:124], v[131:132], v[123:124]
	v_add_f64 v[121:122], v[129:130], v[121:122]
	v_mul_f64 v[129:130], v[83:84], s[18:19]
	v_mul_f64 v[131:132], v[79:80], s[16:17]
	v_add_f64 v[119:120], v[119:120], v[127:128]
	v_add_f64 v[117:118], v[125:126], -v[117:118]
	v_mul_f64 v[125:126], v[63:64], s[28:29]
	v_add_f64 v[28:29], v[52:53], v[28:29]
	v_mul_f64 v[52:53], v[63:64], s[6:7]
	v_add_f64 v[30:31], v[54:55], v[30:31]
	v_add_f64 v[40:41], v[16:17], v[40:41]
	;; [unrolled: 1-line block ×4, first 2 shown]
	v_mul_f64 v[121:122], v[83:84], s[30:31]
	v_mul_f64 v[123:124], v[85:86], s[24:25]
	v_fma_f64 v[127:128], v[69:70], s[0:1], v[129:130]
	v_fma_f64 v[134:135], v[71:72], s[18:19], v[131:132]
	;; [unrolled: 1-line block ×3, first 2 shown]
	v_fma_f64 v[113:114], v[71:72], s[18:19], -v[131:132]
	v_mul_f64 v[131:132], v[63:64], s[0:1]
	v_fma_f64 v[140:141], v[67:68], s[24:25], v[125:126]
	v_fma_f64 v[125:126], v[67:68], s[24:25], -v[125:126]
	v_add_f64 v[30:31], v[30:31], v[46:47]
	v_add_f64 v[28:29], v[28:29], v[44:45]
	;; [unrolled: 1-line block ×3, first 2 shown]
	v_mul_f64 v[136:137], v[79:80], s[42:43]
	v_add_f64 v[111:112], v[119:120], v[111:112]
	v_add_f64 v[109:110], v[117:118], v[109:110]
	v_fma_f64 v[117:118], v[69:70], s[38:39], v[121:122]
	v_fma_f64 v[138:139], v[61:62], s[36:37], v[123:124]
	v_add_f64 v[127:128], v[18:19], v[127:128]
	v_add_f64 v[134:135], v[16:17], v[134:135]
	v_fma_f64 v[121:122], v[69:70], s[26:27], v[121:122]
	v_mul_f64 v[119:120], v[85:86], s[4:5]
	v_fma_f64 v[123:124], v[61:62], s[28:29], v[123:124]
	v_add_f64 v[129:130], v[18:19], v[129:130]
	v_add_f64 v[113:114], v[16:17], v[113:114]
	;; [unrolled: 1-line block ×4, first 2 shown]
	v_fma_f64 v[38:39], v[67:68], s[4:5], -v[52:53]
	v_add_f64 v[34:35], v[50:51], v[111:112]
	v_add_f64 v[32:33], v[48:49], v[109:110]
	v_fma_f64 v[48:49], v[61:62], s[16:17], v[115:116]
	v_add_f64 v[50:51], v[18:19], v[117:118]
	v_add_f64 v[111:112], v[138:139], v[127:128]
	v_mul_f64 v[117:118], v[75:76], s[42:43]
	v_add_f64 v[127:128], v[140:141], v[134:135]
	v_fma_f64 v[134:135], v[67:68], s[18:19], v[131:132]
	v_add_f64 v[138:139], v[16:17], v[142:143]
	v_fma_f64 v[115:116], v[61:62], s[0:1], v[115:116]
	v_add_f64 v[121:122], v[18:19], v[121:122]
	v_mul_f64 v[109:110], v[95:96], s[14:15]
	v_add_f64 v[123:124], v[123:124], v[129:130]
	v_fma_f64 v[129:130], v[61:62], s[34:35], v[119:120]
	v_fma_f64 v[131:132], v[67:68], s[18:19], -v[131:132]
	v_add_f64 v[140:141], v[18:19], v[144:145]
	v_add_f64 v[113:114], v[125:126], v[113:114]
	v_fma_f64 v[125:126], v[65:66], s[20:21], v[42:43]
	v_fma_f64 v[42:43], v[65:66], s[42:43], v[42:43]
	;; [unrolled: 1-line block ×3, first 2 shown]
	v_add_f64 v[24:25], v[28:29], v[24:25]
	v_mul_f64 v[28:29], v[63:64], s[26:27]
	v_mul_f64 v[63:64], v[63:64], s[42:43]
	v_add_f64 v[26:27], v[30:31], v[26:27]
	v_mul_f64 v[30:31], v[105:106], s[30:31]
	v_add_f64 v[48:49], v[48:49], v[50:51]
	;; [unrolled: 2-line block ×3, first 2 shown]
	v_fma_f64 v[138:139], v[77:78], s[22:23], v[117:118]
	v_add_f64 v[115:116], v[115:116], v[121:122]
	v_mul_f64 v[121:122], v[107:108], s[4:5]
	v_fma_f64 v[117:118], v[77:78], s[22:23], -v[117:118]
	v_add_f64 v[40:41], v[131:132], v[40:41]
	v_fma_f64 v[131:132], v[65:66], s[40:41], v[109:110]
	v_add_f64 v[129:130], v[129:130], v[140:141]
	v_mul_f64 v[140:141], v[81:82], s[34:35]
	v_add_f64 v[111:112], v[125:126], v[111:112]
	v_fma_f64 v[109:110], v[65:66], s[8:9], v[109:110]
	v_add_f64 v[42:43], v[42:43], v[123:124]
	v_mul_f64 v[123:124], v[107:108], s[24:25]
	v_add_f64 v[36:37], v[119:120], v[44:45]
	v_fma_f64 v[119:120], v[71:72], s[22:23], v[136:137]
	v_add_f64 v[20:21], v[24:25], v[20:21]
	v_add_f64 v[22:23], v[26:27], v[22:23]
	v_fma_f64 v[125:126], v[77:78], s[14:15], v[50:51]
	v_fma_f64 v[50:51], v[77:78], s[14:15], -v[50:51]
	v_mul_f64 v[26:27], v[99:100], s[20:21]
	v_add_f64 v[127:128], v[138:139], v[127:128]
	v_fma_f64 v[138:139], v[73:74], s[6:7], v[121:122]
	v_add_f64 v[113:114], v[117:118], v[113:114]
	v_mul_f64 v[117:118], v[103:104], s[14:15]
	v_fma_f64 v[121:122], v[73:74], s[34:35], v[121:122]
	v_add_f64 v[48:49], v[131:132], v[48:49]
	v_fma_f64 v[131:132], v[97:98], s[4:5], v[140:141]
	v_fma_f64 v[140:141], v[97:98], s[4:5], -v[140:141]
	v_add_f64 v[109:110], v[109:110], v[115:116]
	v_mul_f64 v[115:116], v[81:82], s[36:37]
	v_add_f64 v[119:120], v[16:17], v[119:120]
	v_add_f64 v[12:13], v[20:21], v[12:13]
	v_add_f64 v[14:15], v[22:23], v[14:15]
	v_add_f64 v[125:126], v[125:126], v[134:135]
	v_mul_f64 v[134:135], v[101:102], s[8:9]
	v_add_f64 v[40:41], v[50:51], v[40:41]
	v_fma_f64 v[142:143], v[93:94], s[22:23], v[26:27]
	v_add_f64 v[111:112], v[138:139], v[111:112]
	v_fma_f64 v[138:139], v[73:74], s[28:29], v[123:124]
	v_fma_f64 v[123:124], v[73:74], s[36:37], v[123:124]
	v_add_f64 v[42:43], v[121:122], v[42:43]
	v_add_f64 v[127:128], v[131:132], v[127:128]
	v_fma_f64 v[131:132], v[87:88], s[40:41], v[117:118]
	v_add_f64 v[113:114], v[140:141], v[113:114]
	v_fma_f64 v[50:51], v[97:98], s[24:25], v[115:116]
	v_mul_f64 v[140:141], v[95:96], s[30:31]
	v_fma_f64 v[117:118], v[87:88], s[8:9], v[117:118]
	v_fma_f64 v[115:116], v[97:98], s[24:25], -v[115:116]
	v_fma_f64 v[121:122], v[91:92], s[14:15], v[134:135]
	v_fma_f64 v[134:135], v[91:92], s[14:15], -v[134:135]
	v_add_f64 v[48:49], v[138:139], v[48:49]
	v_mul_f64 v[138:139], v[103:104], s[4:5]
	v_add_f64 v[109:110], v[123:124], v[109:110]
	v_add_f64 v[111:112], v[131:132], v[111:112]
	v_mul_f64 v[131:132], v[101:102], s[34:35]
	v_add_f64 v[50:51], v[50:51], v[125:126]
	;; [unrolled: 3-line block ×3, first 2 shown]
	v_mul_f64 v[115:116], v[103:104], s[22:23]
	v_add_f64 v[121:122], v[121:122], v[127:128]
	v_fma_f64 v[127:128], v[65:66], s[26:27], v[140:141]
	v_add_f64 v[113:114], v[134:135], v[113:114]
	v_mul_f64 v[134:135], v[79:80], s[36:37]
	v_mul_f64 v[79:80], v[79:80], s[40:41]
	v_fma_f64 v[140:141], v[65:66], s[38:39], v[140:141]
	v_fma_f64 v[125:126], v[87:88], s[6:7], v[138:139]
	;; [unrolled: 1-line block ×4, first 2 shown]
	v_fma_f64 v[131:132], v[91:92], s[4:5], -v[131:132]
	v_add_f64 v[127:128], v[127:128], v[129:130]
	v_fma_f64 v[129:130], v[73:74], s[40:41], v[117:118]
	v_fma_f64 v[54:55], v[71:72], s[24:25], v[134:135]
	v_fma_f64 v[46:47], v[71:72], s[24:25], -v[134:135]
	v_fma_f64 v[117:118], v[73:74], s[8:9], v[117:118]
	v_add_f64 v[36:37], v[140:141], v[36:37]
	v_mul_f64 v[140:141], v[99:100], s[26:27]
	v_add_f64 v[48:49], v[125:126], v[48:49]
	v_mul_f64 v[125:126], v[83:84], s[22:23]
	;; [unrolled: 2-line block ×3, first 2 shown]
	v_mul_f64 v[83:84], v[83:84], s[14:15]
	v_add_f64 v[50:51], v[123:124], v[50:51]
	v_add_f64 v[40:41], v[131:132], v[40:41]
	v_mul_f64 v[131:132], v[85:86], s[30:31]
	v_fma_f64 v[123:124], v[87:88], s[20:21], v[115:116]
	v_fma_f64 v[115:116], v[87:88], s[42:43], v[115:116]
	v_add_f64 v[127:128], v[129:130], v[127:128]
	v_fma_f64 v[129:130], v[67:68], s[4:5], v[52:53]
	v_add_f64 v[54:55], v[16:17], v[54:55]
	v_add_f64 v[44:45], v[16:17], v[46:47]
	;; [unrolled: 1-line block ×3, first 2 shown]
	v_fma_f64 v[117:118], v[93:94], s[30:31], v[140:141]
	v_fma_f64 v[140:141], v[93:94], s[30:31], -v[140:141]
	v_fma_f64 v[134:135], v[69:70], s[20:21], v[125:126]
	v_fma_f64 v[125:126], v[69:70], s[42:43], v[125:126]
	;; [unrolled: 1-line block ×4, first 2 shown]
	v_add_f64 v[123:124], v[123:124], v[127:128]
	v_mul_f64 v[127:128], v[81:82], s[8:9]
	v_add_f64 v[54:55], v[129:130], v[54:55]
	v_fma_f64 v[129:130], v[77:78], s[30:31], v[138:139]
	v_add_f64 v[38:39], v[38:39], v[44:45]
	v_fma_f64 v[138:139], v[77:78], s[30:31], -v[138:139]
	v_mul_f64 v[44:45], v[105:106], s[22:23]
	v_add_f64 v[52:53], v[18:19], v[134:135]
	v_fma_f64 v[134:135], v[71:72], s[22:23], -v[136:137]
	v_fma_f64 v[136:137], v[69:70], s[8:9], v[83:84]
	v_fma_f64 v[69:70], v[69:70], s[40:41], v[83:84]
	;; [unrolled: 1-line block ×3, first 2 shown]
	v_fma_f64 v[71:72], v[71:72], s[14:15], -v[79:80]
	v_mul_f64 v[79:80], v[95:96], s[4:5]
	v_add_f64 v[125:126], v[18:19], v[125:126]
	v_mul_f64 v[95:96], v[95:96], s[24:25]
	v_add_f64 v[36:37], v[115:116], v[36:37]
	v_add_f64 v[115:116], v[12:13], v[8:9]
	;; [unrolled: 1-line block ×5, first 2 shown]
	v_fma_f64 v[129:130], v[97:98], s[14:15], v[127:128]
	v_add_f64 v[38:39], v[138:139], v[38:39]
	v_fma_f64 v[138:139], v[67:68], s[22:23], -v[63:64]
	v_add_f64 v[46:47], v[46:47], v[52:53]
	v_mul_f64 v[52:53], v[85:86], s[22:23]
	v_add_f64 v[134:135], v[16:17], v[134:135]
	v_add_f64 v[136:137], v[18:19], v[136:137]
	;; [unrolled: 1-line block ×4, first 2 shown]
	v_fma_f64 v[85:86], v[65:66], s[34:35], v[79:80]
	v_add_f64 v[16:17], v[16:17], v[71:72]
	v_mul_f64 v[69:70], v[75:76], s[6:7]
	v_fma_f64 v[71:72], v[67:68], s[30:31], v[28:29]
	v_fma_f64 v[28:29], v[67:68], s[30:31], -v[28:29]
	v_mul_f64 v[75:76], v[75:76], s[36:37]
	v_fma_f64 v[63:64], v[67:68], s[22:23], v[63:64]
	v_add_f64 v[125:126], v[131:132], v[125:126]
	v_mul_f64 v[67:68], v[107:108], s[18:19]
	v_fma_f64 v[79:80], v[65:66], s[6:7], v[79:80]
	v_mul_f64 v[107:108], v[107:108], s[30:31]
	v_fma_f64 v[127:128], v[97:98], s[14:15], -v[127:128]
	v_mul_f64 v[131:132], v[99:100], s[16:17]
	v_add_f64 v[54:55], v[129:130], v[54:55]
	v_fma_f64 v[129:130], v[89:90], s[38:39], v[30:31]
	v_fma_f64 v[30:31], v[89:90], s[26:27], v[30:31]
	v_add_f64 v[4:5], v[115:116], v[4:5]
	v_fma_f64 v[24:25], v[61:62], s[42:43], v[52:53]
	v_fma_f64 v[52:53], v[61:62], s[20:21], v[52:53]
	;; [unrolled: 3-line block ×3, first 2 shown]
	v_fma_f64 v[69:70], v[77:78], s[4:5], -v[69:70]
	v_add_f64 v[28:29], v[28:29], v[134:135]
	v_fma_f64 v[134:135], v[65:66], s[36:37], v[95:96]
	v_add_f64 v[16:17], v[138:139], v[16:17]
	v_add_f64 v[71:72], v[71:72], v[119:120]
	v_fma_f64 v[138:139], v[93:94], s[22:23], -v[26:27]
	v_add_f64 v[63:64], v[63:64], v[83:84]
	v_mul_f64 v[83:84], v[103:104], s[24:25]
	v_add_f64 v[79:80], v[79:80], v[125:126]
	v_fma_f64 v[125:126], v[73:74], s[0:1], v[67:68]
	v_fma_f64 v[67:68], v[73:74], s[16:17], v[67:68]
	v_mul_f64 v[103:104], v[103:104], s[18:19]
	v_mul_f64 v[119:120], v[105:106], s[18:19]
	v_add_f64 v[38:39], v[127:128], v[38:39]
	v_add_f64 v[18:19], v[24:25], v[18:19]
	v_fma_f64 v[24:25], v[89:90], s[20:21], v[44:45]
	v_fma_f64 v[44:45], v[65:66], s[28:29], v[95:96]
	v_mul_f64 v[65:66], v[81:82], s[26:27]
	v_fma_f64 v[95:96], v[77:78], s[24:25], -v[75:76]
	v_mul_f64 v[81:82], v[81:82], s[0:1]
	v_add_f64 v[26:27], v[52:53], v[136:137]
	v_fma_f64 v[75:76], v[77:78], s[24:25], v[75:76]
	v_mul_f64 v[52:53], v[101:102], s[42:43]
	v_add_f64 v[28:29], v[69:70], v[28:29]
	v_fma_f64 v[69:70], v[73:74], s[26:27], v[107:108]
	v_fma_f64 v[73:74], v[73:74], s[38:39], v[107:108]
	v_add_f64 v[61:62], v[61:62], v[71:72]
	v_fma_f64 v[77:78], v[93:94], s[18:19], v[131:132]
	v_add_f64 v[79:80], v[125:126], v[79:80]
	v_fma_f64 v[125:126], v[87:88], s[28:29], v[83:84]
	v_fma_f64 v[83:84], v[87:88], s[36:37], v[83:84]
	v_add_f64 v[46:47], v[67:68], v[46:47]
	v_fma_f64 v[71:72], v[89:90], s[0:1], v[119:120]
	v_add_f64 v[18:19], v[134:135], v[18:19]
	v_mul_f64 v[134:135], v[101:102], s[28:29]
	v_mul_f64 v[101:102], v[101:102], s[16:17]
	v_fma_f64 v[107:108], v[97:98], s[30:31], -v[65:66]
	v_add_f64 v[16:17], v[95:96], v[16:17]
	v_fma_f64 v[95:96], v[97:98], s[18:19], -v[81:82]
	v_fma_f64 v[81:82], v[97:98], s[18:19], v[81:82]
	v_add_f64 v[26:27], v[44:45], v[26:27]
	v_fma_f64 v[65:66], v[97:98], s[30:31], v[65:66]
	v_add_f64 v[63:64], v[75:76], v[63:64]
	v_mul_f64 v[97:98], v[105:106], s[14:15]
	v_mul_f64 v[75:76], v[99:100], s[8:9]
	;; [unrolled: 1-line block ×4, first 2 shown]
	v_fma_f64 v[44:45], v[91:92], s[22:23], v[52:53]
	v_fma_f64 v[52:53], v[91:92], s[22:23], -v[52:53]
	v_add_f64 v[79:80], v[125:126], v[79:80]
	v_add_f64 v[46:47], v[83:84], v[46:47]
	;; [unrolled: 1-line block ×3, first 2 shown]
	v_fma_f64 v[69:70], v[87:88], s[16:17], v[103:104]
	v_fma_f64 v[22:23], v[91:92], s[18:19], -v[101:102]
	v_fma_f64 v[20:21], v[91:92], s[24:25], -v[134:135]
	v_add_f64 v[16:17], v[107:108], v[16:17]
	v_add_f64 v[28:29], v[95:96], v[28:29]
	v_fma_f64 v[67:68], v[91:92], s[24:25], v[134:135]
	v_add_f64 v[61:62], v[81:82], v[61:62]
	v_fma_f64 v[81:82], v[87:88], s[0:1], v[103:104]
	;; [unrolled: 2-line block ×3, first 2 shown]
	v_add_f64 v[63:64], v[65:66], v[63:64]
	v_add_f64 v[107:108], v[14:15], v[10:11]
	v_fma_f64 v[101:102], v[89:90], s[6:7], v[105:106]
	v_fma_f64 v[103:104], v[93:94], s[4:5], -v[99:100]
	v_fma_f64 v[87:88], v[89:90], s[8:9], v[97:98]
	v_fma_f64 v[91:92], v[93:94], s[14:15], -v[75:76]
	;; [unrolled: 2-line block ×3, first 2 shown]
	v_add_f64 v[38:39], v[52:53], v[38:39]
	v_add_f64 v[44:45], v[44:45], v[54:55]
	v_fma_f64 v[52:53], v[89:90], s[40:41], v[97:98]
	v_fma_f64 v[54:55], v[93:94], s[14:15], v[75:76]
	v_add_f64 v[69:70], v[69:70], v[18:19]
	v_add_f64 v[14:15], v[30:31], v[42:43]
	;; [unrolled: 1-line block ×7, first 2 shown]
	v_fma_f64 v[67:68], v[89:90], s[34:35], v[105:106]
	v_add_f64 v[75:76], v[81:82], v[26:27]
	v_fma_f64 v[81:82], v[93:94], s[4:5], v[99:100]
	v_add_f64 v[63:64], v[73:74], v[63:64]
	v_add_f64 v[6:7], v[107:108], v[6:7]
	;; [unrolled: 1-line block ×7, first 2 shown]
	v_mad_u32_u24 v52, 0xc0, v60, v133
	v_add_f64 v[30:31], v[101:102], v[69:70]
	v_add_f64 v[28:29], v[103:104], v[16:17]
	;; [unrolled: 1-line block ×10, first 2 shown]
	ds_write_b128 v52, v[4:7]
	ds_write_b128 v52, v[28:31] offset:16
	ds_write_b128 v52, v[24:27] offset:32
	;; [unrolled: 1-line block ×12, first 2 shown]
.LBB0_15:
	s_or_b32 exec_lo, exec_lo, s33
	v_and_b32_e32 v4, 0xff, v60
	v_mov_b32_e32 v5, 6
	s_load_dwordx2 s[2:3], s[2:3], 0x0
	s_waitcnt lgkmcnt(0)
	s_barrier
	v_mul_lo_u16 v4, 0x4f, v4
	buffer_gl0_inv
	s_mov_b32 s0, 0x37e14327
	s_mov_b32 s1, 0x3fe948f6
	;; [unrolled: 1-line block ×3, first 2 shown]
	v_lshrrev_b16 v69, 10, v4
	s_mov_b32 s6, 0xe976ee23
	s_mov_b32 s5, 0x3fac98ee
	;; [unrolled: 1-line block ×4, first 2 shown]
	v_mul_lo_u16 v4, v69, 13
	s_mov_b32 s8, 0x5476071b
	s_mov_b32 s15, 0x3fd5d0dc
	s_mov_b32 s14, 0xb247c609
	v_sub_nc_u16 v70, v60, v4
	v_mul_u32_u24_sdwa v4, v70, v5 dst_sel:DWORD dst_unused:UNUSED_PAD src0_sel:BYTE_0 src1_sel:DWORD
	v_lshlrev_b32_e32 v24, 4, v4
	s_clause 0x5
	global_load_dwordx4 v[4:7], v24, s[12:13]
	global_load_dwordx4 v[8:11], v24, s[12:13] offset:16
	global_load_dwordx4 v[12:15], v24, s[12:13] offset:80
	;; [unrolled: 1-line block ×5, first 2 shown]
	ds_read_b128 v[28:31], v133 offset:832
	ds_read_b128 v[32:35], v133 offset:1664
	;; [unrolled: 1-line block ×6, first 2 shown]
	s_waitcnt vmcnt(5) lgkmcnt(5)
	v_mul_f64 v[52:53], v[30:31], v[6:7]
	v_mul_f64 v[6:7], v[28:29], v[6:7]
	s_waitcnt vmcnt(4) lgkmcnt(4)
	v_mul_f64 v[54:55], v[34:35], v[10:11]
	v_mul_f64 v[10:11], v[32:33], v[10:11]
	s_waitcnt vmcnt(3) lgkmcnt(3)
	v_mul_f64 v[61:62], v[38:39], v[14:15]
	v_mul_f64 v[14:15], v[36:37], v[14:15]
	s_waitcnt vmcnt(2) lgkmcnt(2)
	v_mul_f64 v[63:64], v[42:43], v[18:19]
	v_mul_f64 v[18:19], v[40:41], v[18:19]
	s_waitcnt vmcnt(1) lgkmcnt(1)
	v_mul_f64 v[65:66], v[46:47], v[22:23]
	v_mul_f64 v[22:23], v[44:45], v[22:23]
	s_waitcnt vmcnt(0) lgkmcnt(0)
	v_mul_f64 v[67:68], v[50:51], v[26:27]
	v_mul_f64 v[26:27], v[48:49], v[26:27]
	v_fma_f64 v[28:29], v[28:29], v[4:5], -v[52:53]
	v_fma_f64 v[4:5], v[30:31], v[4:5], v[6:7]
	v_fma_f64 v[6:7], v[32:33], v[8:9], -v[54:55]
	v_fma_f64 v[8:9], v[34:35], v[8:9], v[10:11]
	v_fma_f64 v[10:11], v[36:37], v[12:13], -v[61:62]
	v_fma_f64 v[12:13], v[38:39], v[12:13], v[14:15]
	v_fma_f64 v[14:15], v[40:41], v[16:17], -v[63:64]
	v_fma_f64 v[16:17], v[42:43], v[16:17], v[18:19]
	v_fma_f64 v[18:19], v[44:45], v[20:21], -v[65:66]
	v_fma_f64 v[20:21], v[46:47], v[20:21], v[22:23]
	v_fma_f64 v[22:23], v[48:49], v[24:25], -v[67:68]
	v_fma_f64 v[24:25], v[50:51], v[24:25], v[26:27]
	v_add_f64 v[26:27], v[28:29], v[10:11]
	v_add_f64 v[30:31], v[4:5], v[12:13]
	;; [unrolled: 1-line block ×4, first 2 shown]
	v_add_f64 v[14:15], v[6:7], -v[14:15]
	v_add_f64 v[8:9], v[8:9], -v[16:17]
	v_add_f64 v[36:37], v[18:19], v[22:23]
	v_add_f64 v[38:39], v[20:21], v[24:25]
	v_add_f64 v[16:17], v[22:23], -v[18:19]
	v_add_f64 v[18:19], v[24:25], -v[20:21]
	;; [unrolled: 1-line block ×4, first 2 shown]
	ds_read_b128 v[4:7], v133
	s_waitcnt lgkmcnt(0)
	s_barrier
	buffer_gl0_inv
	v_add_f64 v[20:21], v[32:33], v[26:27]
	v_add_f64 v[22:23], v[34:35], v[30:31]
	v_add_f64 v[24:25], v[26:27], -v[36:37]
	v_add_f64 v[28:29], v[30:31], -v[38:39]
	;; [unrolled: 1-line block ×10, first 2 shown]
	v_add_f64 v[14:15], v[16:17], v[14:15]
	v_add_f64 v[8:9], v[18:19], v[8:9]
	v_add_f64 v[32:33], v[10:11], -v[16:17]
	v_add_f64 v[20:21], v[36:37], v[20:21]
	v_add_f64 v[22:23], v[38:39], v[22:23]
	v_add_f64 v[38:39], v[12:13], -v[18:19]
	v_mul_f64 v[24:25], v[24:25], s[0:1]
	v_mul_f64 v[28:29], v[28:29], s[0:1]
	s_mov_b32 s0, 0x429ad128
	v_mul_f64 v[34:35], v[40:41], s[4:5]
	v_mul_f64 v[36:37], v[42:43], s[4:5]
	;; [unrolled: 1-line block ×4, first 2 shown]
	s_mov_b32 s1, 0x3febfeb5
	s_mov_b32 s6, 0xaaaaaaaa
	v_mul_f64 v[52:53], v[48:49], s[0:1]
	v_mul_f64 v[54:55], v[50:51], s[0:1]
	s_mov_b32 s7, 0xbff2aaaa
	v_add_f64 v[16:17], v[4:5], v[20:21]
	v_add_f64 v[18:19], v[6:7], v[22:23]
	;; [unrolled: 1-line block ×4, first 2 shown]
	v_fma_f64 v[8:9], v[40:41], s[4:5], v[24:25]
	v_fma_f64 v[10:11], v[42:43], s[4:5], v[28:29]
	v_fma_f64 v[12:13], v[26:27], s[8:9], -v[34:35]
	v_fma_f64 v[14:15], v[30:31], s[8:9], -v[36:37]
	s_mov_b32 s9, 0xbfe77f67
	v_fma_f64 v[34:35], v[32:33], s[14:15], v[44:45]
	v_fma_f64 v[36:37], v[38:39], s[14:15], v[46:47]
	s_mov_b32 s15, 0xbfd5d0dc
	v_fma_f64 v[24:25], v[26:27], s[8:9], -v[24:25]
	v_fma_f64 v[32:33], v[32:33], s[14:15], -v[52:53]
	;; [unrolled: 1-line block ×6, first 2 shown]
	s_mov_b32 s0, 0x37c3f68c
	s_mov_b32 s1, 0x3fdc38aa
	v_mov_b32_e32 v48, 0x5b0
	v_fma_f64 v[20:21], v[20:21], s[6:7], v[16:17]
	v_fma_f64 v[22:23], v[22:23], s[6:7], v[18:19]
	;; [unrolled: 1-line block ×8, first 2 shown]
	v_cmp_gt_u32_e64 s0, 39, v60
	v_add_f64 v[44:45], v[8:9], v[20:21]
	v_add_f64 v[46:47], v[10:11], v[22:23]
	;; [unrolled: 1-line block ×7, first 2 shown]
	v_add_f64 v[22:23], v[46:47], -v[34:35]
	v_add_f64 v[24:25], v[38:39], v[8:9]
	v_add_f64 v[26:27], v[10:11], -v[32:33]
	v_add_f64 v[28:29], v[4:5], -v[42:43]
	v_add_f64 v[30:31], v[40:41], v[6:7]
	v_add_f64 v[4:5], v[42:43], v[4:5]
	v_add_f64 v[6:7], v[6:7], -v[40:41]
	v_add_f64 v[8:9], v[8:9], -v[38:39]
	v_add_f64 v[10:11], v[32:33], v[10:11]
	v_add_f64 v[12:13], v[44:45], -v[36:37]
	v_add_f64 v[14:15], v[34:35], v[46:47]
	v_mov_b32_e32 v32, 4
	v_mul_u32_u24_sdwa v33, v69, v48 dst_sel:DWORD dst_unused:UNUSED_PAD src0_sel:WORD_0 src1_sel:DWORD
	v_lshlrev_b32_sdwa v32, v32, v70 dst_sel:DWORD dst_unused:UNUSED_PAD src0_sel:DWORD src1_sel:BYTE_0
	v_add3_u32 v32, 0, v33, v32
	ds_write_b128 v32, v[16:19]
	ds_write_b128 v32, v[20:23] offset:208
	ds_write_b128 v32, v[24:27] offset:416
	;; [unrolled: 1-line block ×6, first 2 shown]
	s_waitcnt lgkmcnt(0)
	s_barrier
	buffer_gl0_inv
	ds_read_b128 v[16:19], v133
	ds_read_b128 v[28:31], v133 offset:1456
	ds_read_b128 v[24:27], v133 offset:2912
	;; [unrolled: 1-line block ×3, first 2 shown]
	s_and_saveexec_b32 s1, s0
	s_cbranch_execz .LBB0_17
; %bb.16:
	ds_read_b128 v[4:7], v133 offset:832
	ds_read_b128 v[8:11], v133 offset:2288
	ds_read_b128 v[12:15], v133 offset:3744
	ds_read_b128 v[0:3], v133 offset:5200
.LBB0_17:
	s_or_b32 exec_lo, exec_lo, s1
	v_mul_u32_u24_e32 v32, 3, v60
	v_lshlrev_b32_e32 v40, 4, v32
	s_clause 0x2
	global_load_dwordx4 v[32:35], v40, s[12:13] offset:1248
	global_load_dwordx4 v[36:39], v40, s[12:13] offset:1264
	;; [unrolled: 1-line block ×3, first 2 shown]
	s_waitcnt vmcnt(0) lgkmcnt(0)
	s_barrier
	buffer_gl0_inv
	v_mul_f64 v[44:45], v[30:31], v[34:35]
	v_mul_f64 v[34:35], v[28:29], v[34:35]
	;; [unrolled: 1-line block ×6, first 2 shown]
	v_fma_f64 v[28:29], v[28:29], v[32:33], -v[44:45]
	v_fma_f64 v[30:31], v[30:31], v[32:33], v[34:35]
	v_fma_f64 v[24:25], v[24:25], v[36:37], -v[46:47]
	v_fma_f64 v[26:27], v[26:27], v[36:37], v[38:39]
	;; [unrolled: 2-line block ×3, first 2 shown]
	v_add_f64 v[24:25], v[16:17], -v[24:25]
	v_add_f64 v[26:27], v[18:19], -v[26:27]
	;; [unrolled: 1-line block ×4, first 2 shown]
	v_fma_f64 v[32:33], v[16:17], 2.0, -v[24:25]
	v_fma_f64 v[34:35], v[18:19], 2.0, -v[26:27]
	;; [unrolled: 1-line block ×4, first 2 shown]
	v_add_f64 v[16:17], v[24:25], -v[22:23]
	v_add_f64 v[18:19], v[26:27], v[20:21]
	v_add_f64 v[20:21], v[32:33], -v[28:29]
	v_add_f64 v[22:23], v[34:35], -v[30:31]
	v_fma_f64 v[24:25], v[24:25], 2.0, -v[16:17]
	v_fma_f64 v[26:27], v[26:27], 2.0, -v[18:19]
	;; [unrolled: 1-line block ×4, first 2 shown]
	ds_write_b128 v133, v[24:27] offset:1456
	ds_write_b128 v133, v[20:23] offset:2912
	ds_write_b128 v133, v[28:31]
	ds_write_b128 v133, v[16:19] offset:4368
	s_and_saveexec_b32 s1, s0
	s_cbranch_execz .LBB0_19
; %bb.18:
	v_add_nc_u32_e32 v16, 52, v60
	v_subrev_nc_u32_e32 v17, 39, v60
	v_cndmask_b32_e64 v16, v17, v16, s0
	v_mov_b32_e32 v17, 0
	v_mul_i32_i24_e32 v16, 3, v16
	v_lshlrev_b64 v[16:17], 4, v[16:17]
	v_add_co_u32 v24, s0, s12, v16
	v_add_co_ci_u32_e64 v25, s0, s13, v17, s0
	s_clause 0x2
	global_load_dwordx4 v[16:19], v[24:25], off offset:1264
	global_load_dwordx4 v[20:23], v[24:25], off offset:1248
	;; [unrolled: 1-line block ×3, first 2 shown]
	s_waitcnt vmcnt(2)
	v_mul_f64 v[28:29], v[12:13], v[18:19]
	s_waitcnt vmcnt(1)
	v_mul_f64 v[30:31], v[10:11], v[22:23]
	v_mul_f64 v[22:23], v[8:9], v[22:23]
	s_waitcnt vmcnt(0)
	v_mul_f64 v[32:33], v[0:1], v[26:27]
	v_mul_f64 v[18:19], v[14:15], v[18:19]
	;; [unrolled: 1-line block ×3, first 2 shown]
	v_fma_f64 v[14:15], v[14:15], v[16:17], v[28:29]
	v_fma_f64 v[8:9], v[8:9], v[20:21], -v[30:31]
	v_fma_f64 v[10:11], v[10:11], v[20:21], v[22:23]
	v_fma_f64 v[2:3], v[2:3], v[24:25], v[32:33]
	v_fma_f64 v[12:13], v[12:13], v[16:17], -v[18:19]
	v_fma_f64 v[0:1], v[0:1], v[24:25], -v[26:27]
	v_add_f64 v[14:15], v[6:7], -v[14:15]
	v_add_f64 v[16:17], v[10:11], -v[2:3]
	;; [unrolled: 1-line block ×4, first 2 shown]
	v_fma_f64 v[18:19], v[6:7], 2.0, -v[14:15]
	v_fma_f64 v[6:7], v[10:11], 2.0, -v[16:17]
	;; [unrolled: 1-line block ×4, first 2 shown]
	v_add_f64 v[2:3], v[14:15], v[0:1]
	v_add_f64 v[0:1], v[12:13], -v[16:17]
	v_add_f64 v[6:7], v[18:19], -v[6:7]
	;; [unrolled: 1-line block ×3, first 2 shown]
	v_fma_f64 v[10:11], v[14:15], 2.0, -v[2:3]
	v_fma_f64 v[8:9], v[12:13], 2.0, -v[0:1]
	;; [unrolled: 1-line block ×4, first 2 shown]
	ds_write_b128 v133, v[8:11] offset:2288
	ds_write_b128 v133, v[4:7] offset:3744
	;; [unrolled: 1-line block ×4, first 2 shown]
.LBB0_19:
	s_or_b32 exec_lo, exec_lo, s1
	s_waitcnt lgkmcnt(0)
	s_barrier
	buffer_gl0_inv
	ds_read_b128 v[4:7], v133
	v_lshlrev_b32_e32 v0, 4, v60
	s_add_u32 s1, s12, 0x15f0
	s_addc_u32 s4, s13, 0
	s_mov_b32 s5, exec_lo
                                        ; implicit-def: $vgpr2_vgpr3
                                        ; implicit-def: $vgpr8_vgpr9
                                        ; implicit-def: $vgpr10_vgpr11
	v_sub_nc_u32_e32 v12, 0, v0
	v_cmpx_ne_u32_e32 0, v60
	s_xor_b32 s5, exec_lo, s5
	s_cbranch_execz .LBB0_21
; %bb.20:
	v_mov_b32_e32 v61, 0
	v_lshlrev_b64 v[0:1], 4, v[60:61]
	v_add_co_u32 v0, s0, s1, v0
	v_add_co_ci_u32_e64 v1, s0, s4, v1, s0
	global_load_dwordx4 v[13:16], v[0:1], off
	ds_read_b128 v[0:3], v12 offset:5824
	s_waitcnt lgkmcnt(0)
	v_add_f64 v[8:9], v[4:5], -v[0:1]
	v_add_f64 v[10:11], v[6:7], v[2:3]
	v_add_f64 v[2:3], v[6:7], -v[2:3]
	v_add_f64 v[0:1], v[4:5], v[0:1]
	v_mul_f64 v[6:7], v[8:9], 0.5
	v_mul_f64 v[4:5], v[10:11], 0.5
	;; [unrolled: 1-line block ×3, first 2 shown]
	s_waitcnt vmcnt(0)
	v_mul_f64 v[8:9], v[6:7], v[15:16]
	v_fma_f64 v[10:11], v[4:5], v[15:16], v[2:3]
	v_fma_f64 v[2:3], v[4:5], v[15:16], -v[2:3]
	v_fma_f64 v[17:18], v[0:1], 0.5, v[8:9]
	v_fma_f64 v[0:1], v[0:1], 0.5, -v[8:9]
	v_fma_f64 v[8:9], -v[13:14], v[6:7], v[10:11]
	v_mov_b32_e32 v10, v60
	v_fma_f64 v[2:3], -v[13:14], v[6:7], v[2:3]
	v_mov_b32_e32 v11, v61
	v_fma_f64 v[15:16], v[4:5], v[13:14], v[17:18]
	v_fma_f64 v[0:1], -v[4:5], v[13:14], v[0:1]
                                        ; implicit-def: $vgpr4_vgpr5
	ds_write_b64 v133, v[15:16]
.LBB0_21:
	s_andn2_saveexec_b32 s0, s5
	s_cbranch_execz .LBB0_23
; %bb.22:
	v_mov_b32_e32 v17, 0
	s_waitcnt lgkmcnt(0)
	v_add_f64 v[15:16], v[4:5], v[6:7]
	v_add_f64 v[0:1], v[4:5], -v[6:7]
	v_mov_b32_e32 v8, 0
	v_mov_b32_e32 v9, 0
	ds_read_b64 v[13:14], v17 offset:2920
	v_mov_b32_e32 v10, 0
	v_mov_b32_e32 v2, v8
	;; [unrolled: 1-line block ×4, first 2 shown]
	s_waitcnt lgkmcnt(0)
	v_xor_b32_e32 v14, 0x80000000, v14
	ds_write_b64 v133, v[15:16]
	ds_write_b64 v17, v[13:14] offset:2920
.LBB0_23:
	s_or_b32 exec_lo, exec_lo, s0
	s_waitcnt lgkmcnt(0)
	v_lshlrev_b64 v[4:5], 4, v[10:11]
	v_add_co_u32 v4, s0, s1, v4
	v_add_co_ci_u32_e64 v5, s0, s4, v5, s0
	s_mov_b32 s1, exec_lo
	s_clause 0x1
	global_load_dwordx4 v[13:16], v[4:5], off offset:832
	global_load_dwordx4 v[17:20], v[4:5], off offset:1664
	ds_write_b64 v133, v[8:9] offset:8
	ds_write_b128 v12, v[0:3] offset:5824
	ds_read_b128 v[0:3], v133 offset:832
	ds_read_b128 v[6:9], v12 offset:4992
	s_waitcnt lgkmcnt(0)
	v_add_f64 v[10:11], v[0:1], -v[6:7]
	v_add_f64 v[21:22], v[2:3], v[8:9]
	v_add_f64 v[2:3], v[2:3], -v[8:9]
	v_add_f64 v[0:1], v[0:1], v[6:7]
	v_mul_f64 v[8:9], v[10:11], 0.5
	v_mul_f64 v[10:11], v[21:22], 0.5
	v_mul_f64 v[2:3], v[2:3], 0.5
	s_waitcnt vmcnt(1)
	v_mul_f64 v[6:7], v[8:9], v[15:16]
	v_fma_f64 v[21:22], v[10:11], v[15:16], v[2:3]
	v_fma_f64 v[15:16], v[10:11], v[15:16], -v[2:3]
	v_fma_f64 v[23:24], v[0:1], 0.5, v[6:7]
	v_fma_f64 v[6:7], v[0:1], 0.5, -v[6:7]
	v_fma_f64 v[2:3], -v[13:14], v[8:9], v[21:22]
	v_fma_f64 v[8:9], -v[13:14], v[8:9], v[15:16]
	v_fma_f64 v[0:1], v[10:11], v[13:14], v[23:24]
	v_fma_f64 v[6:7], -v[10:11], v[13:14], v[6:7]
	ds_write_b128 v133, v[0:3] offset:832
	ds_write_b128 v12, v[6:9] offset:4992
	ds_read_b128 v[0:3], v133 offset:1664
	ds_read_b128 v[6:9], v12 offset:4160
	s_waitcnt lgkmcnt(0)
	v_add_f64 v[10:11], v[0:1], -v[6:7]
	v_add_f64 v[13:14], v[2:3], v[8:9]
	v_add_f64 v[2:3], v[2:3], -v[8:9]
	v_add_f64 v[0:1], v[0:1], v[6:7]
	v_mul_f64 v[8:9], v[10:11], 0.5
	v_mul_f64 v[10:11], v[13:14], 0.5
	;; [unrolled: 1-line block ×3, first 2 shown]
	s_waitcnt vmcnt(0)
	v_mul_f64 v[6:7], v[8:9], v[19:20]
	v_fma_f64 v[13:14], v[10:11], v[19:20], v[2:3]
	v_fma_f64 v[15:16], v[10:11], v[19:20], -v[2:3]
	v_fma_f64 v[19:20], v[0:1], 0.5, v[6:7]
	v_fma_f64 v[6:7], v[0:1], 0.5, -v[6:7]
	v_fma_f64 v[2:3], -v[17:18], v[8:9], v[13:14]
	v_fma_f64 v[8:9], -v[17:18], v[8:9], v[15:16]
	v_fma_f64 v[0:1], v[10:11], v[17:18], v[19:20]
	v_fma_f64 v[6:7], -v[10:11], v[17:18], v[6:7]
	ds_write_b128 v133, v[0:3] offset:1664
	ds_write_b128 v12, v[6:9] offset:4160
	v_cmpx_gt_u32_e32 26, v60
	s_cbranch_execz .LBB0_25
; %bb.24:
	v_add_co_u32 v0, s0, 0x800, v4
	v_add_co_ci_u32_e64 v1, s0, 0, v5, s0
	global_load_dwordx4 v[0:3], v[0:1], off offset:448
	ds_read_b128 v[4:7], v133 offset:2496
	ds_read_b128 v[8:11], v12 offset:3328
	s_waitcnt lgkmcnt(0)
	v_add_f64 v[13:14], v[4:5], -v[8:9]
	v_add_f64 v[15:16], v[6:7], v[10:11]
	v_add_f64 v[6:7], v[6:7], -v[10:11]
	v_add_f64 v[4:5], v[4:5], v[8:9]
	v_mul_f64 v[10:11], v[13:14], 0.5
	v_mul_f64 v[13:14], v[15:16], 0.5
	v_mul_f64 v[6:7], v[6:7], 0.5
	s_waitcnt vmcnt(0)
	v_mul_f64 v[8:9], v[10:11], v[2:3]
	v_fma_f64 v[15:16], v[13:14], v[2:3], v[6:7]
	v_fma_f64 v[2:3], v[13:14], v[2:3], -v[6:7]
	v_fma_f64 v[6:7], v[4:5], 0.5, v[8:9]
	v_fma_f64 v[17:18], v[4:5], 0.5, -v[8:9]
	v_fma_f64 v[4:5], -v[0:1], v[10:11], v[15:16]
	v_fma_f64 v[8:9], -v[0:1], v[10:11], v[2:3]
	v_fma_f64 v[2:3], v[13:14], v[0:1], v[6:7]
	v_fma_f64 v[6:7], -v[13:14], v[0:1], v[17:18]
	ds_write_b128 v133, v[2:5] offset:2496
	ds_write_b128 v12, v[6:9] offset:3328
.LBB0_25:
	s_or_b32 exec_lo, exec_lo, s1
	s_waitcnt lgkmcnt(0)
	s_barrier
	buffer_gl0_inv
	s_and_saveexec_b32 s0, vcc_lo
	s_cbranch_execz .LBB0_28
; %bb.26:
	v_mul_lo_u32 v2, s3, v58
	v_mul_lo_u32 v3, s2, v59
	v_mad_u64_u32 v[0:1], null, s2, v58, 0
	v_lshl_add_u32 v24, v60, 4, 0
	v_mov_b32_e32 v61, 0
	v_lshlrev_b64 v[14:15], 4, v[56:57]
	v_add_nc_u32_e32 v16, 52, v60
	v_add_nc_u32_e32 v18, 0x68, v60
	v_add3_u32 v1, v1, v3, v2
	ds_read_b128 v[2:5], v24
	ds_read_b128 v[6:9], v24 offset:832
	v_mov_b32_e32 v17, v61
	v_lshlrev_b64 v[20:21], 4, v[60:61]
	ds_read_b128 v[10:13], v24 offset:1664
	v_lshlrev_b64 v[0:1], 4, v[0:1]
	v_mov_b32_e32 v19, v61
	v_mov_b32_e32 v25, v61
	v_lshlrev_b64 v[18:19], 4, v[18:19]
	v_add_co_u32 v0, vcc_lo, s10, v0
	v_add_co_ci_u32_e32 v1, vcc_lo, s11, v1, vcc_lo
	v_add_co_u32 v0, vcc_lo, v0, v14
	v_add_co_ci_u32_e32 v1, vcc_lo, v1, v15, vcc_lo
	v_lshlrev_b64 v[14:15], 4, v[16:17]
	v_add_co_u32 v16, vcc_lo, v0, v20
	v_add_co_ci_u32_e32 v17, vcc_lo, v1, v21, vcc_lo
	v_add_nc_u32_e32 v20, 0x9c, v60
	v_add_co_u32 v14, vcc_lo, v0, v14
	v_mov_b32_e32 v21, v61
	v_add_co_ci_u32_e32 v15, vcc_lo, v1, v15, vcc_lo
	v_add_co_u32 v18, vcc_lo, v0, v18
	s_waitcnt lgkmcnt(2)
	global_store_dwordx4 v[16:17], v[2:5], off
	s_waitcnt lgkmcnt(1)
	global_store_dwordx4 v[14:15], v[6:9], off
	v_lshlrev_b64 v[6:7], 4, v[20:21]
	v_add_co_ci_u32_e32 v19, vcc_lo, v1, v19, vcc_lo
	v_add_nc_u32_e32 v8, 0xd0, v60
	v_mov_b32_e32 v9, v61
	v_add_nc_u32_e32 v14, 0x104, v60
	v_mov_b32_e32 v15, v61
	s_waitcnt lgkmcnt(0)
	global_store_dwordx4 v[18:19], v[10:13], off
	v_add_co_u32 v18, vcc_lo, v0, v6
	ds_read_b128 v[2:5], v24 offset:2496
	v_add_co_ci_u32_e32 v19, vcc_lo, v1, v7, vcc_lo
	v_lshlrev_b64 v[20:21], 4, v[8:9]
	ds_read_b128 v[6:9], v24 offset:3328
	ds_read_b128 v[10:13], v24 offset:4160
	v_lshlrev_b64 v[22:23], 4, v[14:15]
	ds_read_b128 v[14:17], v24 offset:4992
	v_add_nc_u32_e32 v24, 0x138, v60
	v_add_co_u32 v20, vcc_lo, v0, v20
	v_add_co_ci_u32_e32 v21, vcc_lo, v1, v21, vcc_lo
	v_lshlrev_b64 v[24:25], 4, v[24:25]
	v_add_co_u32 v22, vcc_lo, v0, v22
	v_add_co_ci_u32_e32 v23, vcc_lo, v1, v23, vcc_lo
	v_add_co_u32 v24, vcc_lo, v0, v24
	v_add_co_ci_u32_e32 v25, vcc_lo, v1, v25, vcc_lo
	v_cmp_eq_u32_e32 vcc_lo, 51, v60
	s_waitcnt lgkmcnt(3)
	global_store_dwordx4 v[18:19], v[2:5], off
	s_waitcnt lgkmcnt(2)
	global_store_dwordx4 v[20:21], v[6:9], off
	;; [unrolled: 2-line block ×4, first 2 shown]
	s_and_b32 exec_lo, exec_lo, vcc_lo
	s_cbranch_execz .LBB0_28
; %bb.27:
	ds_read_b128 v[2:5], v61 offset:5824
	v_add_co_u32 v0, vcc_lo, 0x1000, v0
	v_add_co_ci_u32_e32 v1, vcc_lo, 0, v1, vcc_lo
	s_waitcnt lgkmcnt(0)
	global_store_dwordx4 v[0:1], v[2:5], off offset:1728
.LBB0_28:
	s_endpgm
	.section	.rodata,"a",@progbits
	.p2align	6, 0x0
	.amdhsa_kernel fft_rtc_fwd_len364_factors_13_7_4_wgs_52_tpt_52_dp_op_CI_CI_unitstride_sbrr_R2C_dirReg
		.amdhsa_group_segment_fixed_size 0
		.amdhsa_private_segment_fixed_size 0
		.amdhsa_kernarg_size 104
		.amdhsa_user_sgpr_count 6
		.amdhsa_user_sgpr_private_segment_buffer 1
		.amdhsa_user_sgpr_dispatch_ptr 0
		.amdhsa_user_sgpr_queue_ptr 0
		.amdhsa_user_sgpr_kernarg_segment_ptr 1
		.amdhsa_user_sgpr_dispatch_id 0
		.amdhsa_user_sgpr_flat_scratch_init 0
		.amdhsa_user_sgpr_private_segment_size 0
		.amdhsa_wavefront_size32 1
		.amdhsa_uses_dynamic_stack 0
		.amdhsa_system_sgpr_private_segment_wavefront_offset 0
		.amdhsa_system_sgpr_workgroup_id_x 1
		.amdhsa_system_sgpr_workgroup_id_y 0
		.amdhsa_system_sgpr_workgroup_id_z 0
		.amdhsa_system_sgpr_workgroup_info 0
		.amdhsa_system_vgpr_workitem_id 0
		.amdhsa_next_free_vgpr 146
		.amdhsa_next_free_sgpr 44
		.amdhsa_reserve_vcc 1
		.amdhsa_reserve_flat_scratch 0
		.amdhsa_float_round_mode_32 0
		.amdhsa_float_round_mode_16_64 0
		.amdhsa_float_denorm_mode_32 3
		.amdhsa_float_denorm_mode_16_64 3
		.amdhsa_dx10_clamp 1
		.amdhsa_ieee_mode 1
		.amdhsa_fp16_overflow 0
		.amdhsa_workgroup_processor_mode 1
		.amdhsa_memory_ordered 1
		.amdhsa_forward_progress 0
		.amdhsa_shared_vgpr_count 0
		.amdhsa_exception_fp_ieee_invalid_op 0
		.amdhsa_exception_fp_denorm_src 0
		.amdhsa_exception_fp_ieee_div_zero 0
		.amdhsa_exception_fp_ieee_overflow 0
		.amdhsa_exception_fp_ieee_underflow 0
		.amdhsa_exception_fp_ieee_inexact 0
		.amdhsa_exception_int_div_zero 0
	.end_amdhsa_kernel
	.text
.Lfunc_end0:
	.size	fft_rtc_fwd_len364_factors_13_7_4_wgs_52_tpt_52_dp_op_CI_CI_unitstride_sbrr_R2C_dirReg, .Lfunc_end0-fft_rtc_fwd_len364_factors_13_7_4_wgs_52_tpt_52_dp_op_CI_CI_unitstride_sbrr_R2C_dirReg
                                        ; -- End function
	.section	.AMDGPU.csdata,"",@progbits
; Kernel info:
; codeLenInByte = 8960
; NumSgprs: 46
; NumVgprs: 146
; ScratchSize: 0
; MemoryBound: 0
; FloatMode: 240
; IeeeMode: 1
; LDSByteSize: 0 bytes/workgroup (compile time only)
; SGPRBlocks: 5
; VGPRBlocks: 18
; NumSGPRsForWavesPerEU: 46
; NumVGPRsForWavesPerEU: 146
; Occupancy: 6
; WaveLimiterHint : 1
; COMPUTE_PGM_RSRC2:SCRATCH_EN: 0
; COMPUTE_PGM_RSRC2:USER_SGPR: 6
; COMPUTE_PGM_RSRC2:TRAP_HANDLER: 0
; COMPUTE_PGM_RSRC2:TGID_X_EN: 1
; COMPUTE_PGM_RSRC2:TGID_Y_EN: 0
; COMPUTE_PGM_RSRC2:TGID_Z_EN: 0
; COMPUTE_PGM_RSRC2:TIDIG_COMP_CNT: 0
	.text
	.p2alignl 6, 3214868480
	.fill 48, 4, 3214868480
	.type	__hip_cuid_ecece880b816e68a,@object ; @__hip_cuid_ecece880b816e68a
	.section	.bss,"aw",@nobits
	.globl	__hip_cuid_ecece880b816e68a
__hip_cuid_ecece880b816e68a:
	.byte	0                               ; 0x0
	.size	__hip_cuid_ecece880b816e68a, 1

	.ident	"AMD clang version 19.0.0git (https://github.com/RadeonOpenCompute/llvm-project roc-6.4.0 25133 c7fe45cf4b819c5991fe208aaa96edf142730f1d)"
	.section	".note.GNU-stack","",@progbits
	.addrsig
	.addrsig_sym __hip_cuid_ecece880b816e68a
	.amdgpu_metadata
---
amdhsa.kernels:
  - .args:
      - .actual_access:  read_only
        .address_space:  global
        .offset:         0
        .size:           8
        .value_kind:     global_buffer
      - .offset:         8
        .size:           8
        .value_kind:     by_value
      - .actual_access:  read_only
        .address_space:  global
        .offset:         16
        .size:           8
        .value_kind:     global_buffer
      - .actual_access:  read_only
        .address_space:  global
        .offset:         24
        .size:           8
        .value_kind:     global_buffer
      - .actual_access:  read_only
        .address_space:  global
        .offset:         32
        .size:           8
        .value_kind:     global_buffer
      - .offset:         40
        .size:           8
        .value_kind:     by_value
      - .actual_access:  read_only
        .address_space:  global
        .offset:         48
        .size:           8
        .value_kind:     global_buffer
      - .actual_access:  read_only
        .address_space:  global
        .offset:         56
        .size:           8
        .value_kind:     global_buffer
      - .offset:         64
        .size:           4
        .value_kind:     by_value
      - .actual_access:  read_only
        .address_space:  global
        .offset:         72
        .size:           8
        .value_kind:     global_buffer
      - .actual_access:  read_only
        .address_space:  global
        .offset:         80
        .size:           8
        .value_kind:     global_buffer
      - .actual_access:  read_only
        .address_space:  global
        .offset:         88
        .size:           8
        .value_kind:     global_buffer
      - .actual_access:  write_only
        .address_space:  global
        .offset:         96
        .size:           8
        .value_kind:     global_buffer
    .group_segment_fixed_size: 0
    .kernarg_segment_align: 8
    .kernarg_segment_size: 104
    .language:       OpenCL C
    .language_version:
      - 2
      - 0
    .max_flat_workgroup_size: 52
    .name:           fft_rtc_fwd_len364_factors_13_7_4_wgs_52_tpt_52_dp_op_CI_CI_unitstride_sbrr_R2C_dirReg
    .private_segment_fixed_size: 0
    .sgpr_count:     46
    .sgpr_spill_count: 0
    .symbol:         fft_rtc_fwd_len364_factors_13_7_4_wgs_52_tpt_52_dp_op_CI_CI_unitstride_sbrr_R2C_dirReg.kd
    .uniform_work_group_size: 1
    .uses_dynamic_stack: false
    .vgpr_count:     146
    .vgpr_spill_count: 0
    .wavefront_size: 32
    .workgroup_processor_mode: 1
amdhsa.target:   amdgcn-amd-amdhsa--gfx1030
amdhsa.version:
  - 1
  - 2
...

	.end_amdgpu_metadata
